;; amdgpu-corpus repo=ROCm/rocFFT kind=compiled arch=gfx1030 opt=O3
	.text
	.amdgcn_target "amdgcn-amd-amdhsa--gfx1030"
	.amdhsa_code_object_version 6
	.protected	fft_rtc_back_len605_factors_11_5_11_wgs_55_tpt_55_half_ip_CI_unitstride_sbrr_dirReg ; -- Begin function fft_rtc_back_len605_factors_11_5_11_wgs_55_tpt_55_half_ip_CI_unitstride_sbrr_dirReg
	.globl	fft_rtc_back_len605_factors_11_5_11_wgs_55_tpt_55_half_ip_CI_unitstride_sbrr_dirReg
	.p2align	8
	.type	fft_rtc_back_len605_factors_11_5_11_wgs_55_tpt_55_half_ip_CI_unitstride_sbrr_dirReg,@function
fft_rtc_back_len605_factors_11_5_11_wgs_55_tpt_55_half_ip_CI_unitstride_sbrr_dirReg: ; @fft_rtc_back_len605_factors_11_5_11_wgs_55_tpt_55_half_ip_CI_unitstride_sbrr_dirReg
; %bb.0:
	s_clause 0x2
	s_load_dwordx4 s[8:11], s[4:5], 0x0
	s_load_dwordx2 s[2:3], s[4:5], 0x50
	s_load_dwordx2 s[12:13], s[4:5], 0x18
	v_mul_u32_u24_e32 v1, 0x4a8, v0
	v_mov_b32_e32 v3, 0
	v_add_nc_u32_sdwa v5, s6, v1 dst_sel:DWORD dst_unused:UNUSED_PAD src0_sel:DWORD src1_sel:WORD_1
	v_mov_b32_e32 v1, 0
	v_mov_b32_e32 v6, v3
	v_mov_b32_e32 v2, 0
	s_waitcnt lgkmcnt(0)
	v_cmp_lt_u64_e64 s0, s[10:11], 2
	s_and_b32 vcc_lo, exec_lo, s0
	s_cbranch_vccnz .LBB0_8
; %bb.1:
	s_load_dwordx2 s[0:1], s[4:5], 0x10
	v_mov_b32_e32 v1, 0
	s_add_u32 s6, s12, 8
	v_mov_b32_e32 v2, 0
	s_addc_u32 s7, s13, 0
	s_mov_b64 s[16:17], 1
	s_waitcnt lgkmcnt(0)
	s_add_u32 s14, s0, 8
	s_addc_u32 s15, s1, 0
.LBB0_2:                                ; =>This Inner Loop Header: Depth=1
	s_load_dwordx2 s[18:19], s[14:15], 0x0
                                        ; implicit-def: $vgpr7_vgpr8
	s_mov_b32 s0, exec_lo
	s_waitcnt lgkmcnt(0)
	v_or_b32_e32 v4, s19, v6
	v_cmpx_ne_u64_e32 0, v[3:4]
	s_xor_b32 s1, exec_lo, s0
	s_cbranch_execz .LBB0_4
; %bb.3:                                ;   in Loop: Header=BB0_2 Depth=1
	v_cvt_f32_u32_e32 v4, s18
	v_cvt_f32_u32_e32 v7, s19
	s_sub_u32 s0, 0, s18
	s_subb_u32 s20, 0, s19
	v_fmac_f32_e32 v4, 0x4f800000, v7
	v_rcp_f32_e32 v4, v4
	v_mul_f32_e32 v4, 0x5f7ffffc, v4
	v_mul_f32_e32 v7, 0x2f800000, v4
	v_trunc_f32_e32 v7, v7
	v_fmac_f32_e32 v4, 0xcf800000, v7
	v_cvt_u32_f32_e32 v7, v7
	v_cvt_u32_f32_e32 v4, v4
	v_mul_lo_u32 v8, s0, v7
	v_mul_hi_u32 v9, s0, v4
	v_mul_lo_u32 v10, s20, v4
	v_add_nc_u32_e32 v8, v9, v8
	v_mul_lo_u32 v9, s0, v4
	v_add_nc_u32_e32 v8, v8, v10
	v_mul_hi_u32 v10, v4, v9
	v_mul_lo_u32 v11, v4, v8
	v_mul_hi_u32 v12, v4, v8
	v_mul_hi_u32 v13, v7, v9
	v_mul_lo_u32 v9, v7, v9
	v_mul_hi_u32 v14, v7, v8
	v_mul_lo_u32 v8, v7, v8
	v_add_co_u32 v10, vcc_lo, v10, v11
	v_add_co_ci_u32_e32 v11, vcc_lo, 0, v12, vcc_lo
	v_add_co_u32 v9, vcc_lo, v10, v9
	v_add_co_ci_u32_e32 v9, vcc_lo, v11, v13, vcc_lo
	v_add_co_ci_u32_e32 v10, vcc_lo, 0, v14, vcc_lo
	v_add_co_u32 v8, vcc_lo, v9, v8
	v_add_co_ci_u32_e32 v9, vcc_lo, 0, v10, vcc_lo
	v_add_co_u32 v4, vcc_lo, v4, v8
	v_add_co_ci_u32_e32 v7, vcc_lo, v7, v9, vcc_lo
	v_mul_hi_u32 v8, s0, v4
	v_mul_lo_u32 v10, s20, v4
	v_mul_lo_u32 v9, s0, v7
	v_add_nc_u32_e32 v8, v8, v9
	v_mul_lo_u32 v9, s0, v4
	v_add_nc_u32_e32 v8, v8, v10
	v_mul_hi_u32 v10, v4, v9
	v_mul_lo_u32 v11, v4, v8
	v_mul_hi_u32 v12, v4, v8
	v_mul_hi_u32 v13, v7, v9
	v_mul_lo_u32 v9, v7, v9
	v_mul_hi_u32 v14, v7, v8
	v_mul_lo_u32 v8, v7, v8
	v_add_co_u32 v10, vcc_lo, v10, v11
	v_add_co_ci_u32_e32 v11, vcc_lo, 0, v12, vcc_lo
	v_add_co_u32 v9, vcc_lo, v10, v9
	v_add_co_ci_u32_e32 v9, vcc_lo, v11, v13, vcc_lo
	v_add_co_ci_u32_e32 v10, vcc_lo, 0, v14, vcc_lo
	v_add_co_u32 v8, vcc_lo, v9, v8
	v_add_co_ci_u32_e32 v9, vcc_lo, 0, v10, vcc_lo
	v_add_co_u32 v4, vcc_lo, v4, v8
	v_add_co_ci_u32_e32 v11, vcc_lo, v7, v9, vcc_lo
	v_mul_hi_u32 v13, v5, v4
	v_mad_u64_u32 v[9:10], null, v6, v4, 0
	v_mad_u64_u32 v[7:8], null, v5, v11, 0
	;; [unrolled: 1-line block ×3, first 2 shown]
	v_add_co_u32 v4, vcc_lo, v13, v7
	v_add_co_ci_u32_e32 v7, vcc_lo, 0, v8, vcc_lo
	v_add_co_u32 v4, vcc_lo, v4, v9
	v_add_co_ci_u32_e32 v4, vcc_lo, v7, v10, vcc_lo
	v_add_co_ci_u32_e32 v7, vcc_lo, 0, v12, vcc_lo
	v_add_co_u32 v4, vcc_lo, v4, v11
	v_add_co_ci_u32_e32 v9, vcc_lo, 0, v7, vcc_lo
	v_mul_lo_u32 v10, s19, v4
	v_mad_u64_u32 v[7:8], null, s18, v4, 0
	v_mul_lo_u32 v11, s18, v9
	v_sub_co_u32 v7, vcc_lo, v5, v7
	v_add3_u32 v8, v8, v11, v10
	v_sub_nc_u32_e32 v10, v6, v8
	v_subrev_co_ci_u32_e64 v10, s0, s19, v10, vcc_lo
	v_add_co_u32 v11, s0, v4, 2
	v_add_co_ci_u32_e64 v12, s0, 0, v9, s0
	v_sub_co_u32 v13, s0, v7, s18
	v_sub_co_ci_u32_e32 v8, vcc_lo, v6, v8, vcc_lo
	v_subrev_co_ci_u32_e64 v10, s0, 0, v10, s0
	v_cmp_le_u32_e32 vcc_lo, s18, v13
	v_cmp_eq_u32_e64 s0, s19, v8
	v_cndmask_b32_e64 v13, 0, -1, vcc_lo
	v_cmp_le_u32_e32 vcc_lo, s19, v10
	v_cndmask_b32_e64 v14, 0, -1, vcc_lo
	v_cmp_le_u32_e32 vcc_lo, s18, v7
	;; [unrolled: 2-line block ×3, first 2 shown]
	v_cndmask_b32_e64 v15, 0, -1, vcc_lo
	v_cmp_eq_u32_e32 vcc_lo, s19, v10
	v_cndmask_b32_e64 v7, v15, v7, s0
	v_cndmask_b32_e32 v10, v14, v13, vcc_lo
	v_add_co_u32 v13, vcc_lo, v4, 1
	v_add_co_ci_u32_e32 v14, vcc_lo, 0, v9, vcc_lo
	v_cmp_ne_u32_e32 vcc_lo, 0, v10
	v_cndmask_b32_e32 v8, v14, v12, vcc_lo
	v_cndmask_b32_e32 v10, v13, v11, vcc_lo
	v_cmp_ne_u32_e32 vcc_lo, 0, v7
	v_cndmask_b32_e32 v8, v9, v8, vcc_lo
	v_cndmask_b32_e32 v7, v4, v10, vcc_lo
.LBB0_4:                                ;   in Loop: Header=BB0_2 Depth=1
	s_andn2_saveexec_b32 s0, s1
	s_cbranch_execz .LBB0_6
; %bb.5:                                ;   in Loop: Header=BB0_2 Depth=1
	v_cvt_f32_u32_e32 v4, s18
	s_sub_i32 s1, 0, s18
	v_rcp_iflag_f32_e32 v4, v4
	v_mul_f32_e32 v4, 0x4f7ffffe, v4
	v_cvt_u32_f32_e32 v4, v4
	v_mul_lo_u32 v7, s1, v4
	v_mul_hi_u32 v7, v4, v7
	v_add_nc_u32_e32 v4, v4, v7
	v_mul_hi_u32 v4, v5, v4
	v_mul_lo_u32 v7, v4, s18
	v_add_nc_u32_e32 v8, 1, v4
	v_sub_nc_u32_e32 v7, v5, v7
	v_subrev_nc_u32_e32 v9, s18, v7
	v_cmp_le_u32_e32 vcc_lo, s18, v7
	v_cndmask_b32_e32 v7, v7, v9, vcc_lo
	v_cndmask_b32_e32 v4, v4, v8, vcc_lo
	v_cmp_le_u32_e32 vcc_lo, s18, v7
	v_add_nc_u32_e32 v8, 1, v4
	v_cndmask_b32_e32 v7, v4, v8, vcc_lo
	v_mov_b32_e32 v8, v3
.LBB0_6:                                ;   in Loop: Header=BB0_2 Depth=1
	s_or_b32 exec_lo, exec_lo, s0
	s_load_dwordx2 s[0:1], s[6:7], 0x0
	v_mul_lo_u32 v4, v8, s18
	v_mul_lo_u32 v11, v7, s19
	v_mad_u64_u32 v[9:10], null, v7, s18, 0
	s_add_u32 s16, s16, 1
	s_addc_u32 s17, s17, 0
	s_add_u32 s6, s6, 8
	s_addc_u32 s7, s7, 0
	;; [unrolled: 2-line block ×3, first 2 shown]
	v_add3_u32 v4, v10, v11, v4
	v_sub_co_u32 v5, vcc_lo, v5, v9
	v_sub_co_ci_u32_e32 v4, vcc_lo, v6, v4, vcc_lo
	s_waitcnt lgkmcnt(0)
	v_mul_lo_u32 v6, s1, v5
	v_mul_lo_u32 v4, s0, v4
	v_mad_u64_u32 v[1:2], null, s0, v5, v[1:2]
	v_cmp_ge_u64_e64 s0, s[16:17], s[10:11]
	s_and_b32 vcc_lo, exec_lo, s0
	v_add3_u32 v2, v6, v2, v4
	s_cbranch_vccnz .LBB0_9
; %bb.7:                                ;   in Loop: Header=BB0_2 Depth=1
	v_mov_b32_e32 v5, v7
	v_mov_b32_e32 v6, v8
	s_branch .LBB0_2
.LBB0_8:
	v_mov_b32_e32 v8, v6
	v_mov_b32_e32 v7, v5
.LBB0_9:
	s_lshl_b64 s[0:1], s[10:11], 3
	v_mul_hi_u32 v3, 0x4a7904b, v0
	s_add_u32 s0, s12, s0
	s_addc_u32 s1, s13, s1
	v_mov_b32_e32 v10, 0
	s_load_dwordx2 s[0:1], s[0:1], 0x0
	s_load_dwordx2 s[4:5], s[4:5], 0x20
	v_mov_b32_e32 v11, 0
                                        ; implicit-def: $vgpr6
                                        ; implicit-def: $vgpr14
                                        ; implicit-def: $vgpr15
                                        ; implicit-def: $vgpr16
	v_mul_u32_u24_e32 v3, 55, v3
	v_sub_nc_u32_e32 v12, v0, v3
	v_mov_b32_e32 v0, 0
                                        ; implicit-def: $vgpr3
	s_waitcnt lgkmcnt(0)
	v_mul_lo_u32 v4, s0, v8
	v_mul_lo_u32 v5, s1, v7
	v_mad_u64_u32 v[1:2], null, s0, v7, v[1:2]
	v_cmp_gt_u64_e32 vcc_lo, s[4:5], v[7:8]
                                        ; implicit-def: $vgpr7
	v_add3_u32 v2, v5, v2, v4
                                        ; implicit-def: $vgpr5
                                        ; implicit-def: $vgpr4
	v_lshlrev_b64 v[8:9], 2, v[1:2]
                                        ; implicit-def: $vgpr2
                                        ; implicit-def: $vgpr1
	s_and_saveexec_b32 s1, vcc_lo
; %bb.10:
	v_mov_b32_e32 v13, 0
	v_add_co_u32 v2, s0, s2, v8
	v_add_co_ci_u32_e64 v3, s0, s3, v9, s0
	v_lshlrev_b64 v[0:1], 2, v[12:13]
	v_add_co_u32 v10, s0, v2, v0
	v_add_co_ci_u32_e64 v11, s0, v3, v1, s0
	v_add_co_u32 v17, s0, 0x800, v10
	v_add_co_ci_u32_e64 v18, s0, 0, v11, s0
	s_clause 0xa
	global_load_dword v0, v[10:11], off
	global_load_dword v16, v[10:11], off offset:220
	global_load_dword v15, v[10:11], off offset:440
	;; [unrolled: 1-line block ×10, first 2 shown]
	v_mov_b32_e32 v10, v12
	v_mov_b32_e32 v11, v13
; %bb.11:
	s_or_b32 exec_lo, exec_lo, s1
	s_waitcnt vmcnt(0)
	v_pk_add_f16 v13, v16, v1
	v_pk_add_f16 v17, v16, v1 neg_lo:[0,1] neg_hi:[0,1]
	v_pk_add_f16 v16, v16, v0
	v_pk_add_f16 v28, v15, v2
	v_pk_add_f16 v29, v15, v2 neg_lo:[0,1] neg_hi:[0,1]
	v_pk_add_f16 v38, v14, v3
	v_pk_add_f16 v39, v14, v3 neg_lo:[0,1] neg_hi:[0,1]
	v_pk_add_f16 v15, v15, v16
	v_pk_add_f16 v49, v7, v4
	v_pk_add_f16 v50, v7, v4 neg_lo:[0,1] neg_hi:[0,1]
	v_lshrrev_b32_e32 v20, 16, v13
	v_mul_f16_e32 v21, 0xb853, v17
	v_pk_add_f16 v14, v14, v15
	v_mul_f16_e32 v23, 0xbb47, v17
	v_mul_f16_e32 v26, 0xbbeb, v17
	;; [unrolled: 1-line block ×3, first 2 shown]
	v_lshrrev_b32_e32 v32, 16, v28
	v_pk_add_f16 v7, v7, v14
	v_mul_f16_e32 v33, 0xbb47, v29
	v_mul_f16_e32 v34, 0xba0c, v29
	;; [unrolled: 1-line block ×4, first 2 shown]
	v_pk_add_f16 v7, v6, v7
	v_pk_add_f16 v56, v6, v5
	v_pk_add_f16 v6, v6, v5 neg_lo:[0,1] neg_hi:[0,1]
	v_fma_f16 v25, v20, 0x3abb, -v21
	v_fmac_f16_e32 v21, 0x3abb, v20
	v_pk_add_f16 v5, v5, v7
	v_fma_f16 v27, v20, 0x36a6, -v23
	v_fmac_f16_e32 v23, 0x36a6, v20
	v_fma_f16 v30, v20, 0xb08e, -v26
	v_fmac_f16_e32 v26, 0xb08e, v20
	v_fma_f16 v35, v20, 0xb93d, -v31
	v_fmac_f16_e32 v31, 0xb93d, v20
	v_fma_f16 v20, v32, 0x36a6, -v33
	v_fmac_f16_e32 v33, 0x36a6, v32
	v_fma_f16 v36, v32, 0xb93d, -v34
	v_fmac_f16_e32 v34, 0xb93d, v32
	v_fma_f16 v41, v32, 0xbbad, -v37
	v_fmac_f16_e32 v37, 0xbbad, v32
	v_lshrrev_b32_e32 v42, 16, v38
	v_mul_f16_e32 v43, 0xbbeb, v39
	v_fma_f16 v44, v32, 0xb08e, -v40
	v_mul_f16_e32 v45, 0x3482, v39
	v_fmac_f16_e32 v40, 0xb08e, v32
	v_mul_f16_e32 v32, 0x3b47, v39
	v_mul_f16_e32 v51, 0xb853, v39
	v_lshrrev_b32_e32 v16, 16, v49
	v_mul_f16_e32 v52, 0xba0c, v50
	v_mul_f16_e32 v15, 0x3beb, v50
	;; [unrolled: 1-line block ×4, first 2 shown]
	v_pk_add_f16 v4, v4, v5
	v_fma_f16 v46, v42, 0xb08e, -v43
	v_fmac_f16_e32 v43, 0xb08e, v42
	v_fma_f16 v47, v42, 0xbbad, -v45
	v_fmac_f16_e32 v45, 0xbbad, v42
	;; [unrolled: 2-line block ×7, first 2 shown]
	v_lshrrev_b32_e32 v58, 16, v56
	v_mul_f16_e32 v7, 0xb482, v6
	v_fma_f16 v59, v16, 0xbbad, -v57
	v_fmac_f16_e32 v57, 0xbbad, v16
	v_mul_f16_e32 v16, 0x3853, v6
	v_mul_f16_e32 v60, 0xba0c, v6
	v_pk_add_f16 v3, v3, v4
	v_mul_f16_e32 v4, 0x3b47, v6
	v_mov_b32_e32 v18, 0xb853
	v_mov_b32_e32 v19, 0xbb47
	v_fma_f16 v5, v58, 0xbbad, -v7
	v_fmac_f16_e32 v7, 0xbbad, v58
	v_fma_f16 v61, v58, 0x3abb, -v16
	v_fmac_f16_e32 v16, 0x3abb, v58
	v_fma_f16 v62, v58, 0xb93d, -v60
	v_fmac_f16_e32 v60, 0xb93d, v58
	v_pk_add_f16 v2, v2, v3
	v_fma_f16 v3, v58, 0x36a6, -v4
	v_fmac_f16_e32 v4, 0x36a6, v58
	v_mov_b32_e32 v58, 0xbbeb
	v_mov_b32_e32 v64, 0xba0c
	v_mul_f16_sdwa v22, v17, v18 dst_sel:DWORD dst_unused:UNUSED_PAD src0_sel:WORD_1 src1_sel:DWORD
	v_mul_f16_sdwa v24, v17, v19 dst_sel:DWORD dst_unused:UNUSED_PAD src0_sel:WORD_1 src1_sel:DWORD
	v_pk_add_f16 v1, v1, v2
	v_mul_f16_sdwa v2, v17, v58 dst_sel:DWORD dst_unused:UNUSED_PAD src0_sel:WORD_1 src1_sel:DWORD
	v_mul_f16_sdwa v66, v17, v64 dst_sel:DWORD dst_unused:UNUSED_PAD src0_sel:WORD_1 src1_sel:DWORD
	v_fmamk_f16 v63, v13, 0x3abb, v22
	v_fmamk_f16 v65, v13, 0x36a6, v24
	v_pk_mul_f16 v17, 0xb482, v17 op_sel_hi:[0,1]
	v_fmamk_f16 v67, v13, 0xb08e, v2
	v_fmamk_f16 v68, v13, 0xb93d, v66
	v_mul_f16_sdwa v19, v29, v19 dst_sel:DWORD dst_unused:UNUSED_PAD src0_sel:WORD_1 src1_sel:DWORD
	v_fma_f16 v22, v13, 0x3abb, -v22
	v_fma_f16 v24, v13, 0x36a6, -v24
	v_fma_f16 v2, v13, 0xb08e, -v2
	v_fma_f16 v66, v13, 0xb93d, -v66
	v_pk_fma_f16 v69, 0xbbad, v13, v17 op_sel:[0,0,1] op_sel_hi:[0,1,0]
	v_pk_fma_f16 v13, 0xbbad, v13, v17 op_sel:[0,0,1] op_sel_hi:[0,1,0] neg_lo:[0,0,1] neg_hi:[0,0,1]
	v_add_f16_e32 v17, v63, v0
	v_add_f16_e32 v63, v65, v0
	;; [unrolled: 1-line block ×4, first 2 shown]
	v_fmamk_f16 v68, v28, 0x36a6, v19
	v_add_f16_sdwa v25, v25, v0 dst_sel:DWORD dst_unused:UNUSED_PAD src0_sel:DWORD src1_sel:WORD_1
	v_add_f16_e32 v22, v22, v0
	v_add_f16_sdwa v21, v21, v0 dst_sel:DWORD dst_unused:UNUSED_PAD src0_sel:DWORD src1_sel:WORD_1
	v_add_f16_sdwa v27, v27, v0 dst_sel:DWORD dst_unused:UNUSED_PAD src0_sel:DWORD src1_sel:WORD_1
	v_add_f16_e32 v24, v24, v0
	v_add_f16_sdwa v23, v23, v0 dst_sel:DWORD dst_unused:UNUSED_PAD src0_sel:DWORD src1_sel:WORD_1
	;; [unrolled: 3-line block ×4, first 2 shown]
	v_pk_add_f16 v69, v69, v0
	v_pk_add_f16 v0, v13, v0
	v_fma_f16 v13, v28, 0x36a6, -v19
	v_mul_f16_sdwa v19, v29, v64 dst_sel:DWORD dst_unused:UNUSED_PAD src0_sel:WORD_1 src1_sel:DWORD
	v_add_f16_e32 v17, v68, v17
	v_mov_b32_e32 v68, 0x3482
	v_add_f16_e32 v20, v20, v25
	v_add_f16_e32 v13, v13, v22
	v_fmamk_f16 v22, v28, 0xb93d, v19
	v_fma_f16 v19, v28, 0xb93d, -v19
	v_mul_f16_sdwa v25, v29, v68 dst_sel:DWORD dst_unused:UNUSED_PAD src0_sel:WORD_1 src1_sel:DWORD
	v_add_f16_e32 v21, v33, v21
	v_mov_b32_e32 v33, 0x3beb
	v_add_f16_e32 v27, v36, v27
	v_add_f16_e32 v19, v19, v24
	v_fmamk_f16 v36, v28, 0xbbad, v25
	v_fma_f16 v24, v28, 0xbbad, -v25
	v_add_f16_e32 v22, v22, v63
	v_mul_f16_sdwa v63, v29, v33 dst_sel:DWORD dst_unused:UNUSED_PAD src0_sel:WORD_1 src1_sel:DWORD
	v_pk_mul_f16 v29, 0x3853, v29 op_sel_hi:[0,1]
	v_add_f16_e32 v25, v36, v65
	v_add_f16_e32 v2, v24, v2
	;; [unrolled: 1-line block ×3, first 2 shown]
	v_mul_f16_sdwa v36, v39, v58 dst_sel:DWORD dst_unused:UNUSED_PAD src0_sel:WORD_1 src1_sel:DWORD
	v_mov_b32_e32 v37, 0x3b47
	v_add_f16_e32 v23, v34, v23
	v_fmamk_f16 v34, v28, 0xb08e, v63
	v_add_f16_e32 v30, v41, v30
	v_fma_f16 v26, v28, 0xb08e, -v63
	v_add_f16_e32 v31, v40, v31
	v_pk_fma_f16 v40, 0x3abb, v28, v29 op_sel:[0,0,1] op_sel_hi:[0,1,0]
	v_pk_fma_f16 v28, 0x3abb, v28, v29 op_sel:[0,0,1] op_sel_hi:[0,1,0] neg_lo:[0,0,1] neg_hi:[0,0,1]
	v_mul_f16_sdwa v41, v39, v68 dst_sel:DWORD dst_unused:UNUSED_PAD src0_sel:WORD_1 src1_sel:DWORD
	v_add_f16_e32 v35, v44, v35
	v_fmamk_f16 v29, v38, 0xb08e, v36
	v_mul_f16_sdwa v44, v39, v37 dst_sel:DWORD dst_unused:UNUSED_PAD src0_sel:WORD_1 src1_sel:DWORD
	v_pk_add_f16 v0, v28, v0
	v_fmamk_f16 v28, v38, 0xbbad, v41
	v_fma_f16 v41, v38, 0xbbad, -v41
	v_fma_f16 v36, v38, 0xb08e, -v36
	v_add_f16_e32 v17, v29, v17
	v_fmamk_f16 v29, v38, 0x36a6, v44
	v_add_f16_e32 v20, v46, v20
	v_mul_f16_sdwa v46, v39, v18 dst_sel:DWORD dst_unused:UNUSED_PAD src0_sel:WORD_1 src1_sel:DWORD
	v_mul_f16_sdwa v18, v50, v18 dst_sel:DWORD dst_unused:UNUSED_PAD src0_sel:WORD_1 src1_sel:DWORD
	v_add_f16_e32 v19, v41, v19
	v_mov_b32_e32 v41, 0xb482
	v_add_f16_e32 v26, v26, v66
	v_add_f16_e32 v13, v36, v13
	v_mul_f16_sdwa v36, v50, v64 dst_sel:DWORD dst_unused:UNUSED_PAD src0_sel:WORD_1 src1_sel:DWORD
	v_add_f16_e32 v21, v43, v21
	v_fmamk_f16 v43, v38, 0x3abb, v46
	v_fma_f16 v46, v38, 0x3abb, -v46
	v_mul_f16_sdwa v33, v50, v33 dst_sel:DWORD dst_unused:UNUSED_PAD src0_sel:WORD_1 src1_sel:DWORD
	v_add_f16_e32 v23, v45, v23
	v_fmamk_f16 v45, v49, 0x3abb, v18
	v_add_f16_e32 v25, v29, v25
	v_add_f16_e32 v30, v48, v30
	v_mov_b32_e32 v48, 0x3853
	v_pk_mul_f16 v39, 0xba0c, v39 op_sel_hi:[0,1]
	v_add_f16_e32 v34, v34, v67
	v_fma_f16 v44, v38, 0x36a6, -v44
	v_mul_f16_sdwa v29, v50, v41 dst_sel:DWORD dst_unused:UNUSED_PAD src0_sel:WORD_1 src1_sel:DWORD
	v_pk_add_f16 v40, v40, v69
	v_add_f16_e32 v22, v28, v22
	v_fmamk_f16 v28, v49, 0xb93d, v36
	v_fma_f16 v36, v49, 0xb93d, -v36
	v_add_f16_e32 v27, v47, v27
	v_fmamk_f16 v47, v49, 0xb08e, v33
	v_mul_f16_sdwa v41, v6, v41 dst_sel:DWORD dst_unused:UNUSED_PAD src0_sel:WORD_1 src1_sel:DWORD
	v_mul_f16_sdwa v48, v6, v48 dst_sel:DWORD dst_unused:UNUSED_PAD src0_sel:WORD_1 src1_sel:DWORD
	;; [unrolled: 1-line block ×3, first 2 shown]
	v_add_f16_e32 v26, v46, v26
	v_pk_fma_f16 v46, 0xb93d, v38, v39 op_sel:[0,0,1] op_sel_hi:[0,1,0]
	v_pk_fma_f16 v38, 0xb93d, v38, v39 op_sel:[0,0,1] op_sel_hi:[0,1,0] neg_lo:[0,0,1] neg_hi:[0,0,1]
	v_add_f16_e32 v15, v15, v23
	v_add_f16_e32 v23, v45, v25
	v_pk_mul_f16 v25, 0x3b47, v50 op_sel_hi:[0,1]
	v_fma_f16 v33, v49, 0xb08e, -v33
	v_fma_f16 v18, v49, 0x3abb, -v18
	v_add_f16_e32 v2, v44, v2
	v_fmamk_f16 v44, v49, 0xbbad, v29
	v_add_f16_e32 v24, v32, v24
	v_add_f16_e32 v34, v43, v34
	;; [unrolled: 1-line block ×3, first 2 shown]
	v_mul_f16_sdwa v37, v6, v37 dst_sel:DWORD dst_unused:UNUSED_PAD src0_sel:WORD_1 src1_sel:DWORD
	v_fmamk_f16 v32, v56, 0xbbad, v41
	v_fma_f16 v41, v56, 0xbbad, -v41
	v_fmamk_f16 v43, v56, 0x3abb, v48
	v_fmamk_f16 v53, v56, 0xb93d, v58
	v_pk_add_f16 v40, v46, v40
	v_pk_add_f16 v0, v38, v0
	v_add_f16_e32 v17, v28, v17
	v_add_f16_e32 v20, v42, v20
	;; [unrolled: 1-line block ×6, first 2 shown]
	v_pk_fma_f16 v28, 0x36a6, v49, v25 op_sel:[0,0,1] op_sel_hi:[0,1,0]
	v_pk_fma_f16 v25, 0x36a6, v49, v25 op_sel:[0,0,1] op_sel_hi:[0,1,0] neg_lo:[0,0,1] neg_hi:[0,0,1]
	v_pk_mul_f16 v6, 0xbbeb, v6 op_sel_hi:[0,1]
	v_fma_f16 v29, v49, 0xbbad, -v29
	v_add_f16_e32 v31, v51, v31
	v_fma_f16 v48, v56, 0x3abb, -v48
	v_fmamk_f16 v39, v56, 0x36a6, v37
	v_add_f16_e32 v19, v33, v19
	v_add_f16_e32 v27, v55, v30
	;; [unrolled: 1-line block ×6, first 2 shown]
	v_pk_add_f16 v28, v28, v40
	v_pk_add_f16 v25, v25, v0
	v_add_f16_e32 v17, v32, v17
	v_add_f16_e32 v5, v5, v20
	;; [unrolled: 1-line block ×8, first 2 shown]
	v_pk_fma_f16 v23, 0xb08e, v56, v6 op_sel:[0,0,1] op_sel_hi:[0,1,0]
	v_pk_fma_f16 v6, 0xb08e, v56, v6 op_sel:[0,0,1] op_sel_hi:[0,1,0] neg_lo:[0,0,1] neg_hi:[0,0,1]
	v_fma_f16 v58, v56, 0xb93d, -v58
	v_fma_f16 v37, v56, 0x36a6, -v37
	v_add_f16_e32 v26, v29, v26
	v_add_f16_e32 v29, v57, v31
	v_mad_u32_u24 v51, v12, 44, 0
	v_add_f16_e32 v14, v48, v19
	v_add_f16_e32 v19, v62, v27
	v_add_f16_e32 v21, v39, v24
	v_add_f16_e32 v3, v3, v30
	v_pack_b32_f16 v7, v7, v13
	v_pack_b32_f16 v5, v17, v5
	v_pk_add_f16 v13, v23, v28
	v_pk_add_f16 v6, v6, v25
	v_add_f16_e32 v2, v58, v2
	v_add_f16_e32 v18, v60, v18
	;; [unrolled: 1-line block ×4, first 2 shown]
	ds_write_b32 v51, v1
	ds_write2_b32 v51, v5, v7 offset0:1 offset1:2
	v_pack_b32_f16 v1, v21, v3
	v_pack_b32_f16 v3, v16, v19
	v_bfi_b32 v5, 0xffff, v6, v13
	v_bfi_b32 v6, 0xffff, v13, v6
	v_pack_b32_f16 v2, v2, v18
	v_pack_b32_f16 v4, v22, v4
	ds_write2_b32 v51, v3, v1 offset0:3 offset1:4
	ds_write2_b32 v51, v6, v5 offset0:5 offset1:6
	ds_write2_b32 v51, v4, v2 offset0:7 offset1:8
	v_mad_i32_i24 v1, 0xffffffd8, v12, v51
	v_pack_b32_f16 v7, v0, v20
	v_pack_b32_f16 v13, v14, v15
	v_cmp_gt_u32_e64 s0, 11, v12
                                        ; implicit-def: $vgpr22
                                        ; implicit-def: $vgpr21
                                        ; implicit-def: $vgpr23
                                        ; implicit-def: $vgpr24
                                        ; implicit-def: $vgpr25
	v_add_nc_u32_e32 v2, 0x200, v1
	v_add_nc_u32_e32 v3, 0x400, v1
	;; [unrolled: 1-line block ×3, first 2 shown]
	ds_write2_b32 v51, v13, v7 offset0:9 offset1:10
	s_waitcnt lgkmcnt(0)
	s_barrier
	buffer_gl0_inv
	ds_read2_b32 v[4:5], v1 offset1:55
	ds_read2_b32 v[17:18], v1 offset0:121 offset1:176
	ds_read2_b32 v[15:16], v2 offset0:114 offset1:169
	;; [unrolled: 1-line block ×4, first 2 shown]
	v_mul_i32_i24_e32 v1, 0xffffffd8, v12
                                        ; implicit-def: $vgpr3
	v_add_nc_u32_e32 v19, v51, v1
	s_and_saveexec_b32 s1, s0
	s_cbranch_execz .LBB0_13
; %bb.12:
	v_add_nc_u32_e32 v2, 0x400, v19
	ds_read2_b32 v[0:1], v19 offset0:110 offset1:231
	ds_read2_b32 v[2:3], v2 offset0:96 offset1:217
	ds_read_b32 v21, v19 offset:2376
	s_waitcnt lgkmcnt(2)
	v_lshrrev_b32_e32 v20, 16, v0
	v_lshrrev_b32_e32 v25, 16, v1
	s_waitcnt lgkmcnt(1)
	v_lshrrev_b32_e32 v24, 16, v2
	v_lshrrev_b32_e32 v23, 16, v3
	s_waitcnt lgkmcnt(0)
	v_lshrrev_b32_e32 v22, 16, v21
.LBB0_13:
	s_or_b32 exec_lo, exec_lo, s1
	v_and_b32_e32 v26, 0xff, v12
	v_add_nc_u16 v30, v12, 55
	v_mov_b32_e32 v31, 4
	v_mov_b32_e32 v43, 0xdc
	;; [unrolled: 1-line block ×3, first 2 shown]
	v_mul_lo_u16 v26, 0x75, v26
	v_and_b32_e32 v28, 0xff, v30
	s_waitcnt lgkmcnt(3)
	v_lshrrev_b32_e32 v41, 16, v17
	s_waitcnt lgkmcnt(2)
	v_lshrrev_b32_e32 v42, 16, v15
	;; [unrolled: 2-line block ×3, first 2 shown]
	v_lshrrev_b16 v26, 8, v26
	v_mul_lo_u16 v28, 0x75, v28
	s_waitcnt lgkmcnt(0)
	v_lshrrev_b32_e32 v46, 16, v6
	v_lshrrev_b32_e32 v40, 16, v7
	;; [unrolled: 1-line block ×3, first 2 shown]
	v_sub_nc_u16 v27, v12, v26
	v_lshrrev_b16 v28, 8, v28
	v_lshrrev_b32_e32 v48, 16, v16
	v_lshrrev_b32_e32 v49, 16, v14
	;; [unrolled: 1-line block ×3, first 2 shown]
	v_lshrrev_b16 v27, 1, v27
	v_lshrrev_b32_e32 v39, 16, v5
	v_and_b32_e32 v27, 0x7f, v27
	v_add_nc_u16 v26, v27, v26
	v_sub_nc_u16 v27, v30, v28
	v_lshrrev_b16 v34, 3, v26
	v_lshrrev_b16 v26, 1, v27
	v_mul_lo_u16 v27, v34, 11
	v_and_b32_e32 v26, 0x7f, v26
	v_mul_u32_u24_sdwa v34, v34, v43 dst_sel:DWORD dst_unused:UNUSED_PAD src0_sel:WORD_0 src1_sel:DWORD
	v_sub_nc_u16 v35, v12, v27
	v_add_nc_u16 v26, v26, v28
	v_lshlrev_b32_sdwa v27, v31, v35 dst_sel:DWORD dst_unused:UNUSED_PAD src0_sel:DWORD src1_sel:BYTE_0
	v_lshrrev_b16 v36, 3, v26
	v_lshlrev_b32_sdwa v35, v44, v35 dst_sel:DWORD dst_unused:UNUSED_PAD src0_sel:DWORD src1_sel:BYTE_0
	global_load_dwordx4 v[26:29], v27, s[8:9]
	v_mul_lo_u16 v32, v36, 11
	v_mul_u32_u24_sdwa v36, v36, v43 dst_sel:DWORD dst_unused:UNUSED_PAD src0_sel:WORD_0 src1_sel:DWORD
	v_add3_u32 v34, 0, v34, v35
	v_sub_nc_u16 v37, v30, v32
	v_lshlrev_b32_sdwa v30, v31, v37 dst_sel:DWORD dst_unused:UNUSED_PAD src0_sel:DWORD src1_sel:BYTE_0
	v_lshlrev_b32_sdwa v37, v44, v37 dst_sel:DWORD dst_unused:UNUSED_PAD src0_sel:DWORD src1_sel:BYTE_0
	global_load_dwordx4 v[30:33], v30, s[8:9]
	v_add3_u32 v35, 0, v36, v37
	s_waitcnt vmcnt(0)
	s_barrier
	buffer_gl0_inv
	v_mul_f16_sdwa v36, v26, v41 dst_sel:DWORD dst_unused:UNUSED_PAD src0_sel:WORD_1 src1_sel:DWORD
	v_mul_f16_sdwa v37, v26, v17 dst_sel:DWORD dst_unused:UNUSED_PAD src0_sel:WORD_1 src1_sel:DWORD
	;; [unrolled: 1-line block ×8, first 2 shown]
	v_fmac_f16_e32 v36, v26, v17
	v_fma_f16 v17, v26, v41, -v37
	v_fmac_f16_e32 v43, v27, v15
	v_fma_f16 v15, v27, v42, -v44
	;; [unrolled: 2-line block ×4, first 2 shown]
	v_mul_f16_sdwa v26, v30, v47 dst_sel:DWORD dst_unused:UNUSED_PAD src0_sel:WORD_1 src1_sel:DWORD
	v_mul_f16_sdwa v27, v30, v18 dst_sel:DWORD dst_unused:UNUSED_PAD src0_sel:WORD_1 src1_sel:DWORD
	;; [unrolled: 1-line block ×6, first 2 shown]
	v_mul_f16_sdwa v42, v40, v33 dst_sel:DWORD dst_unused:UNUSED_PAD src0_sel:DWORD src1_sel:WORD_1
	v_mul_f16_sdwa v44, v7, v33 dst_sel:DWORD dst_unused:UNUSED_PAD src0_sel:DWORD src1_sel:WORD_1
	v_fmac_f16_e32 v26, v30, v18
	v_fma_f16 v18, v30, v47, -v27
	v_fmac_f16_e32 v28, v31, v16
	v_fma_f16 v16, v31, v48, -v29
	;; [unrolled: 2-line block ×4, first 2 shown]
	v_add_f16_e32 v27, v4, v36
	v_add_f16_e32 v29, v43, v50
	v_sub_f16_e32 v32, v36, v43
	v_sub_f16_e32 v33, v52, v50
	v_add_f16_e32 v40, v36, v52
	v_sub_f16_e32 v41, v43, v36
	v_sub_f16_e32 v44, v50, v52
	v_add_f16_e32 v45, v38, v17
	v_add_f16_e32 v46, v15, v13
	v_sub_f16_e32 v48, v17, v15
	v_sub_f16_e32 v49, v6, v13
	v_add_f16_e32 v51, v17, v6
	v_sub_f16_e32 v30, v17, v6
	v_sub_f16_e32 v31, v15, v13
	;; [unrolled: 1-line block ×6, first 2 shown]
	v_add_f16_e32 v27, v27, v43
	v_fma_f16 v29, -0.5, v29, v4
	v_add_f16_e32 v32, v32, v33
	v_fma_f16 v4, -0.5, v40, v4
	v_add_f16_e32 v33, v41, v44
	v_add_f16_e32 v15, v45, v15
	v_fma_f16 v40, -0.5, v46, v38
	v_add_f16_e32 v41, v48, v49
	v_add_f16_e32 v43, v5, v26
	;; [unrolled: 1-line block ×3, first 2 shown]
	v_sub_f16_e32 v48, v26, v28
	v_sub_f16_e32 v49, v42, v37
	v_add_f16_e32 v55, v39, v18
	v_add_f16_e32 v56, v16, v14
	v_fmac_f16_e32 v38, -0.5, v51
	v_add_f16_e32 v51, v26, v42
	v_add_f16_e32 v60, v18, v7
	;; [unrolled: 1-line block ×3, first 2 shown]
	v_sub_f16_e32 v45, v18, v7
	v_sub_f16_e32 v46, v16, v14
	;; [unrolled: 1-line block ×7, first 2 shown]
	v_add_f16_e32 v27, v27, v50
	v_fmamk_f16 v50, v30, 0xbb9c, v29
	v_add_f16_e32 v13, v15, v13
	v_fmamk_f16 v15, v36, 0x3b9c, v40
	v_add_f16_e32 v28, v43, v28
	v_fma_f16 v43, -0.5, v44, v5
	v_add_f16_e32 v44, v48, v49
	v_add_f16_e32 v16, v55, v16
	v_fma_f16 v49, -0.5, v56, v39
	v_fmac_f16_e32 v29, 0x3b9c, v30
	v_fmamk_f16 v62, v31, 0x3b9c, v4
	v_fmac_f16_e32 v4, 0xbb9c, v31
	v_fmac_f16_e32 v5, -0.5, v51
	v_fmac_f16_e32 v39, -0.5, v60
	v_fmamk_f16 v63, v47, 0xbb9c, v38
	v_fmac_f16_e32 v38, 0x3b9c, v47
	v_fmac_f16_e32 v40, 0xbb9c, v36
	v_sub_f16_e32 v59, v7, v14
	v_sub_f16_e32 v61, v14, v7
	v_fmac_f16_e32 v50, 0xb8b4, v31
	v_add_f16_e32 v6, v13, v6
	v_fmac_f16_e32 v15, 0x38b4, v47
	v_add_f16_e32 v13, v28, v37
	v_fmamk_f16 v28, v45, 0xbb9c, v43
	v_add_f16_e32 v14, v16, v14
	v_fmamk_f16 v16, v26, 0x3b9c, v49
	v_sub_f16_e32 v54, v37, v42
	v_fmac_f16_e32 v29, 0x38b4, v31
	v_fmac_f16_e32 v62, 0xb8b4, v30
	;; [unrolled: 1-line block ×3, first 2 shown]
	v_fmamk_f16 v30, v46, 0x3b9c, v5
	v_fmac_f16_e32 v5, 0xbb9c, v46
	v_fmamk_f16 v31, v57, 0xbb9c, v39
	v_fmac_f16_e32 v39, 0x3b9c, v57
	v_fmac_f16_e32 v43, 0x3b9c, v45
	;; [unrolled: 1-line block ×6, first 2 shown]
	v_add_f16_e32 v51, v58, v59
	v_add_f16_e32 v27, v27, v52
	v_fmac_f16_e32 v50, 0x34f2, v32
	v_fmac_f16_e32 v15, 0x34f2, v41
	;; [unrolled: 1-line block ×4, first 2 shown]
	v_add_f16_e32 v48, v53, v54
	v_add_f16_e32 v18, v18, v61
	v_fmac_f16_e32 v30, 0xb8b4, v45
	v_fmac_f16_e32 v5, 0x38b4, v45
	;; [unrolled: 1-line block ×12, first 2 shown]
	v_add_f16_e32 v13, v13, v42
	v_add_f16_e32 v7, v14, v7
	v_pack_b32_f16 v6, v27, v6
	v_fmac_f16_e32 v28, 0x34f2, v44
	v_fmac_f16_e32 v16, 0x34f2, v51
	v_pack_b32_f16 v14, v50, v15
	v_fmac_f16_e32 v30, 0x34f2, v48
	v_fmac_f16_e32 v5, 0x34f2, v48
	;; [unrolled: 1-line block ×6, first 2 shown]
	v_pack_b32_f16 v15, v62, v63
	v_pack_b32_f16 v4, v4, v38
	;; [unrolled: 1-line block ×4, first 2 shown]
	ds_write2_b32 v34, v6, v14 offset1:11
	v_pack_b32_f16 v6, v28, v16
	v_pack_b32_f16 v13, v30, v31
	;; [unrolled: 1-line block ×4, first 2 shown]
	ds_write2_b32 v34, v15, v4 offset0:22 offset1:33
	ds_write_b32 v34, v17 offset:176
	ds_write2_b32 v35, v7, v6 offset1:11
	ds_write2_b32 v35, v13, v5 offset0:22 offset1:33
	ds_write_b32 v35, v14 offset:176
	s_and_saveexec_b32 s1, s0
	s_cbranch_execz .LBB0_15
; %bb.14:
	v_add_nc_u16 v4, v12, 0x6e
	v_and_b32_e32 v5, 0xff, v4
	v_mul_lo_u16 v5, 0x75, v5
	v_lshrrev_b16 v5, 8, v5
	v_sub_nc_u16 v6, v4, v5
	v_lshrrev_b16 v6, 1, v6
	v_and_b32_e32 v6, 0x7f, v6
	v_add_nc_u16 v5, v6, v5
	v_lshrrev_b16 v5, 3, v5
	v_mul_lo_u16 v5, v5, 11
	v_sub_nc_u16 v4, v4, v5
	v_and_b32_e32 v13, 0xff, v4
	v_lshlrev_b32_e32 v4, 4, v13
	v_lshl_add_u32 v13, v13, 2, 0
	global_load_dwordx4 v[4:7], v4, s[8:9]
	v_add_nc_u32_e32 v14, 0x800, v13
	s_waitcnt vmcnt(0)
	v_mul_f16_sdwa v15, v2, v5 dst_sel:DWORD dst_unused:UNUSED_PAD src0_sel:DWORD src1_sel:WORD_1
	v_mul_f16_sdwa v16, v1, v4 dst_sel:DWORD dst_unused:UNUSED_PAD src0_sel:DWORD src1_sel:WORD_1
	;; [unrolled: 1-line block ×8, first 2 shown]
	v_fma_f16 v15, v24, v5, -v15
	v_fma_f16 v16, v25, v4, -v16
	;; [unrolled: 1-line block ×4, first 2 shown]
	v_fmac_f16_e32 v26, v2, v5
	v_fmac_f16_e32 v27, v3, v6
	;; [unrolled: 1-line block ×4, first 2 shown]
	v_sub_f16_e32 v1, v15, v16
	v_sub_f16_e32 v2, v17, v18
	v_add_f16_e32 v4, v16, v18
	v_sub_f16_e32 v6, v16, v15
	v_sub_f16_e32 v7, v18, v17
	v_add_f16_e32 v21, v15, v17
	v_add_f16_e32 v25, v28, v29
	;; [unrolled: 1-line block ×4, first 2 shown]
	v_sub_f16_e32 v5, v28, v29
	v_sub_f16_e32 v23, v26, v28
	;; [unrolled: 1-line block ×5, first 2 shown]
	v_add_f16_e32 v28, v0, v28
	v_add_f16_e32 v1, v1, v2
	v_fma_f16 v2, -0.5, v4, v20
	v_add_f16_e32 v4, v6, v7
	v_fma_f16 v6, -0.5, v21, v20
	v_fma_f16 v20, -0.5, v25, v0
	;; [unrolled: 1-line block ×3, first 2 shown]
	v_sub_f16_e32 v3, v26, v27
	v_sub_f16_e32 v30, v15, v17
	v_add_f16_e32 v7, v22, v15
	v_sub_f16_e32 v32, v29, v27
	v_add_f16_e32 v15, v23, v24
	v_add_f16_e32 v22, v28, v26
	v_fmamk_f16 v24, v5, 0xbb9c, v6
	v_fmac_f16_e32 v6, 0x3b9c, v5
	v_fmamk_f16 v25, v16, 0x3b9c, v0
	v_fmac_f16_e32 v0, 0xbb9c, v16
	;; [unrolled: 2-line block ×3, first 2 shown]
	v_add_f16_e32 v7, v7, v17
	v_fmamk_f16 v17, v30, 0xbb9c, v20
	v_fmac_f16_e32 v20, 0x3b9c, v30
	v_add_f16_e32 v21, v31, v32
	v_add_f16_e32 v22, v22, v27
	v_fmac_f16_e32 v6, 0x38b4, v3
	v_fmac_f16_e32 v0, 0xb8b4, v30
	;; [unrolled: 1-line block ×8, first 2 shown]
	v_add_f16_e32 v3, v7, v18
	v_add_f16_e32 v5, v22, v29
	v_fmac_f16_e32 v6, 0x34f2, v4
	v_fmac_f16_e32 v0, 0x34f2, v21
	;; [unrolled: 1-line block ×8, first 2 shown]
	v_pack_b32_f16 v1, v5, v3
	v_pack_b32_f16 v0, v0, v6
	;; [unrolled: 1-line block ×5, first 2 shown]
	ds_write2_b32 v14, v1, v0 offset0:38 offset1:49
	ds_write2_b32 v14, v2, v3 offset0:60 offset1:71
	ds_write_b32 v13, v4 offset:2376
.LBB0_15:
	s_or_b32 exec_lo, exec_lo, s1
	s_waitcnt lgkmcnt(0)
	s_barrier
	buffer_gl0_inv
	s_and_saveexec_b32 s0, vcc_lo
	s_cbranch_execz .LBB0_17
; %bb.16:
	v_mul_u32_u24_e32 v0, 10, v12
	v_add_nc_u32_e32 v20, 0x600, v19
	v_lshl_add_u32 v12, v12, 2, 0
	v_add_nc_u32_e32 v25, 0x400, v19
	v_lshlrev_b64 v[23:24], 2, v[10:11]
	v_lshlrev_b32_e32 v4, 2, v0
	v_add_co_u32 v8, vcc_lo, s2, v8
	v_add_co_ci_u32_e32 v9, vcc_lo, s3, v9, vcc_lo
	s_clause 0x2
	global_load_dwordx2 v[15:16], v4, s[8:9] offset:208
	global_load_dwordx4 v[0:3], v4, s[8:9] offset:176
	global_load_dwordx4 v[4:7], v4, s[8:9] offset:192
	ds_read2_b32 v[13:14], v19 offset1:55
	ds_read2_b32 v[17:18], v19 offset0:165 offset1:220
	ds_read2_b32 v[21:22], v20 offset0:111 offset1:166
	ds_read_b32 v12, v12 offset:440
	ds_read2_b32 v[19:20], v25 offset0:129 offset1:184
	ds_read2_b32 v[10:11], v25 offset0:19 offset1:74
	v_add_co_u32 v8, vcc_lo, v8, v23
	v_add_co_ci_u32_e32 v9, vcc_lo, v9, v24, vcc_lo
	v_add_co_u32 v23, vcc_lo, 0x800, v8
	v_add_co_ci_u32_e32 v24, vcc_lo, 0, v9, vcc_lo
	s_waitcnt lgkmcnt(3)
	v_lshrrev_b32_e32 v28, 16, v22
	v_lshrrev_b32_e32 v25, 16, v14
	;; [unrolled: 1-line block ×4, first 2 shown]
	s_waitcnt lgkmcnt(2)
	v_lshrrev_b32_e32 v30, 16, v12
	s_waitcnt lgkmcnt(0)
	v_lshrrev_b32_e32 v34, 16, v10
	v_lshrrev_b32_e32 v29, 16, v21
	;; [unrolled: 1-line block ×5, first 2 shown]
	s_waitcnt vmcnt(2)
	v_lshrrev_b32_e32 v36, 16, v16
	s_waitcnt vmcnt(1)
	v_mul_f16_sdwa v37, v0, v14 dst_sel:DWORD dst_unused:UNUSED_PAD src0_sel:WORD_1 src1_sel:DWORD
	v_mul_f16_sdwa v38, v0, v25 dst_sel:DWORD dst_unused:UNUSED_PAD src0_sel:WORD_1 src1_sel:DWORD
	v_lshrrev_b32_e32 v35, 16, v15
	v_mul_f16_e32 v39, v16, v22
	v_mul_f16_sdwa v40, v1, v12 dst_sel:DWORD dst_unused:UNUSED_PAD src0_sel:WORD_1 src1_sel:DWORD
	v_mul_f16_sdwa v41, v1, v30 dst_sel:DWORD dst_unused:UNUSED_PAD src0_sel:WORD_1 src1_sel:DWORD
	s_waitcnt vmcnt(0)
	v_lshrrev_b32_e32 v43, 16, v5
	v_lshrrev_b32_e32 v44, 16, v6
	;; [unrolled: 1-line block ×3, first 2 shown]
	v_mul_f16_sdwa v46, v2, v17 dst_sel:DWORD dst_unused:UNUSED_PAD src0_sel:WORD_1 src1_sel:DWORD
	v_mul_f16_sdwa v47, v2, v26 dst_sel:DWORD dst_unused:UNUSED_PAD src0_sel:WORD_1 src1_sel:DWORD
	;; [unrolled: 1-line block ×6, first 2 shown]
	v_mul_f16_e32 v22, v36, v22
	v_fma_f16 v25, v0, v25, -v37
	v_fmac_f16_e32 v38, v0, v14
	v_mul_f16_e32 v42, v15, v21
	v_mul_f16_e32 v54, v5, v11
	;; [unrolled: 1-line block ×3, first 2 shown]
	v_fma_f16 v14, v1, v30, -v40
	v_fmac_f16_e32 v41, v1, v12
	v_mul_f16_e32 v1, v45, v20
	v_fma_f16 v12, v2, v26, -v46
	v_fmac_f16_e32 v47, v2, v17
	v_mul_f16_e32 v2, v44, v19
	;; [unrolled: 3-line block ×3, first 2 shown]
	v_fma_f16 v11, v4, v34, -v52
	v_fmac_f16_e32 v53, v4, v10
	v_fma_f16 v4, v16, v28, -v22
	v_add_f16_e32 v16, v38, v13
	v_add_f16_sdwa v18, v25, v13 dst_sel:DWORD dst_unused:UNUSED_PAD src0_sel:DWORD src1_sel:WORD_1
	v_mul_f16_e32 v48, v7, v20
	v_mul_f16_e32 v51, v6, v19
	v_fmac_f16_e32 v39, v28, v36
	v_fmac_f16_e32 v42, v29, v35
	v_fma_f16 v0, v15, v29, -v0
	v_fma_f16 v1, v7, v31, -v1
	;; [unrolled: 1-line block ×4, first 2 shown]
	v_add_f16_e32 v27, v4, v25
	v_sub_f16_e32 v25, v25, v4
	v_add_f16_e32 v18, v18, v14
	v_add_f16_e32 v16, v16, v41
	v_fmac_f16_e32 v48, v31, v45
	v_fmac_f16_e32 v51, v32, v44
	v_fmac_f16_e32 v54, v33, v43
	v_sub_f16_e32 v10, v38, v39
	v_sub_f16_e32 v15, v41, v42
	v_add_f16_e32 v5, v39, v38
	v_add_f16_e32 v20, v42, v41
	;; [unrolled: 1-line block ×6, first 2 shown]
	v_sub_f16_e32 v14, v14, v0
	v_sub_f16_e32 v32, v12, v1
	;; [unrolled: 1-line block ×4, first 2 shown]
	v_mul_f16_e32 v35, 0xbbad, v27
	v_mul_f16_e32 v41, 0xb482, v25
	;; [unrolled: 1-line block ×10, first 2 shown]
	v_add_f16_e32 v12, v18, v12
	v_add_f16_e32 v16, v16, v47
	v_sub_f16_e32 v7, v47, v48
	v_sub_f16_e32 v6, v50, v51
	;; [unrolled: 1-line block ×3, first 2 shown]
	v_add_f16_e32 v21, v48, v47
	v_add_f16_e32 v22, v51, v50
	;; [unrolled: 1-line block ×3, first 2 shown]
	v_mul_f16_e32 v36, 0x3abb, v28
	v_mul_f16_e32 v37, 0xb93d, v29
	;; [unrolled: 1-line block ×40, first 2 shown]
	v_fmamk_f16 v81, v10, 0x3482, v35
	v_fmamk_f16 v85, v5, 0xbbad, v41
	;; [unrolled: 1-line block ×9, first 2 shown]
	v_fmac_f16_e32 v35, 0xb482, v10
	v_fmac_f16_e32 v43, 0xba0c, v10
	;; [unrolled: 1-line block ×5, first 2 shown]
	v_fmamk_f16 v10, v5, 0x3abb, v25
	v_fma_f16 v41, v5, 0xbbad, -v41
	v_fma_f16 v52, v5, 0xb93d, -v52
	;; [unrolled: 1-line block ×5, first 2 shown]
	v_add_f16_e32 v12, v12, v17
	v_add_f16_e32 v16, v16, v50
	v_fmamk_f16 v82, v15, 0xb853, v36
	v_fmamk_f16 v83, v7, 0x3a0c, v37
	;; [unrolled: 1-line block ×13, first 2 shown]
	v_fmac_f16_e32 v36, 0x3853, v15
	v_fmac_f16_e32 v44, 0x3beb, v15
	v_fmac_f16_e32 v56, 0x3482, v15
	v_fmac_f16_e32 v61, 0xba0c, v15
	v_fmac_f16_e32 v28, 0xbb47, v15
	v_fmamk_f16 v15, v7, 0x3beb, v29
	v_fmac_f16_e32 v37, 0xba0c, v7
	v_fmac_f16_e32 v45, 0xb853, v7
	v_fmac_f16_e32 v57, 0x3b47, v7
	v_fmac_f16_e32 v62, 0x3482, v7
	v_fmac_f16_e32 v29, 0xbbeb, v7
	v_fmamk_f16 v7, v6, 0x3a0c, v30
	;; [unrolled: 6-line block ×3, first 2 shown]
	v_fmac_f16_e32 v40, 0xbbeb, v19
	v_fmamk_f16 v102, v19, 0xbb47, v49
	v_fmac_f16_e32 v49, 0x3b47, v19
	v_fmamk_f16 v103, v19, 0x3a0c, v65
	v_fmac_f16_e32 v65, 0xba0c, v19
	v_fmamk_f16 v104, v19, 0xb853, v66
	v_fmac_f16_e32 v66, 0x3853, v19
	v_fmamk_f16 v105, v19, 0x3482, v31
	v_fmac_f16_e32 v31, 0xb482, v19
	v_fmamk_f16 v19, v20, 0x3abb, v67
	v_fma_f16 v67, v20, 0x3abb, -v67
	v_fmamk_f16 v106, v20, 0xb08e, v68
	v_fma_f16 v68, v20, 0xb08e, -v68
	v_fmamk_f16 v107, v20, 0xbbad, v69
	;; [unrolled: 2-line block ×19, first 2 shown]
	v_fma_f16 v26, v26, 0xbbad, -v34
	v_add_f16_sdwa v34, v81, v13 dst_sel:DWORD dst_unused:UNUSED_PAD src0_sel:DWORD src1_sel:WORD_1
	v_add_f16_e32 v81, v85, v13
	v_add_f16_sdwa v85, v86, v13 dst_sel:DWORD dst_unused:UNUSED_PAD src0_sel:DWORD src1_sel:WORD_1
	v_add_f16_e32 v86, v90, v13
	;; [unrolled: 2-line block ×10, first 2 shown]
	v_add_f16_e32 v13, v16, v53
	v_add_f16_e32 v11, v12, v11
	;; [unrolled: 1-line block ×92, first 2 shown]
	v_pack_b32_f16 v4, v10, v7
	v_pack_b32_f16 v7, v21, v20
	;; [unrolled: 1-line block ×11, first 2 shown]
	global_store_dword v[8:9], v4, off offset:220
	global_store_dword v[8:9], v7, off offset:440
	;; [unrolled: 1-line block ×9, first 2 shown]
	global_store_dword v[8:9], v0, off
	global_store_dword v[23:24], v5, off offset:152
.LBB0_17:
	s_endpgm
	.section	.rodata,"a",@progbits
	.p2align	6, 0x0
	.amdhsa_kernel fft_rtc_back_len605_factors_11_5_11_wgs_55_tpt_55_half_ip_CI_unitstride_sbrr_dirReg
		.amdhsa_group_segment_fixed_size 0
		.amdhsa_private_segment_fixed_size 0
		.amdhsa_kernarg_size 88
		.amdhsa_user_sgpr_count 6
		.amdhsa_user_sgpr_private_segment_buffer 1
		.amdhsa_user_sgpr_dispatch_ptr 0
		.amdhsa_user_sgpr_queue_ptr 0
		.amdhsa_user_sgpr_kernarg_segment_ptr 1
		.amdhsa_user_sgpr_dispatch_id 0
		.amdhsa_user_sgpr_flat_scratch_init 0
		.amdhsa_user_sgpr_private_segment_size 0
		.amdhsa_wavefront_size32 1
		.amdhsa_uses_dynamic_stack 0
		.amdhsa_system_sgpr_private_segment_wavefront_offset 0
		.amdhsa_system_sgpr_workgroup_id_x 1
		.amdhsa_system_sgpr_workgroup_id_y 0
		.amdhsa_system_sgpr_workgroup_id_z 0
		.amdhsa_system_sgpr_workgroup_info 0
		.amdhsa_system_vgpr_workitem_id 0
		.amdhsa_next_free_vgpr 120
		.amdhsa_next_free_sgpr 21
		.amdhsa_reserve_vcc 1
		.amdhsa_reserve_flat_scratch 0
		.amdhsa_float_round_mode_32 0
		.amdhsa_float_round_mode_16_64 0
		.amdhsa_float_denorm_mode_32 3
		.amdhsa_float_denorm_mode_16_64 3
		.amdhsa_dx10_clamp 1
		.amdhsa_ieee_mode 1
		.amdhsa_fp16_overflow 0
		.amdhsa_workgroup_processor_mode 1
		.amdhsa_memory_ordered 1
		.amdhsa_forward_progress 0
		.amdhsa_shared_vgpr_count 0
		.amdhsa_exception_fp_ieee_invalid_op 0
		.amdhsa_exception_fp_denorm_src 0
		.amdhsa_exception_fp_ieee_div_zero 0
		.amdhsa_exception_fp_ieee_overflow 0
		.amdhsa_exception_fp_ieee_underflow 0
		.amdhsa_exception_fp_ieee_inexact 0
		.amdhsa_exception_int_div_zero 0
	.end_amdhsa_kernel
	.text
.Lfunc_end0:
	.size	fft_rtc_back_len605_factors_11_5_11_wgs_55_tpt_55_half_ip_CI_unitstride_sbrr_dirReg, .Lfunc_end0-fft_rtc_back_len605_factors_11_5_11_wgs_55_tpt_55_half_ip_CI_unitstride_sbrr_dirReg
                                        ; -- End function
	.section	.AMDGPU.csdata,"",@progbits
; Kernel info:
; codeLenInByte = 8244
; NumSgprs: 23
; NumVgprs: 120
; ScratchSize: 0
; MemoryBound: 0
; FloatMode: 240
; IeeeMode: 1
; LDSByteSize: 0 bytes/workgroup (compile time only)
; SGPRBlocks: 2
; VGPRBlocks: 14
; NumSGPRsForWavesPerEU: 23
; NumVGPRsForWavesPerEU: 120
; Occupancy: 8
; WaveLimiterHint : 1
; COMPUTE_PGM_RSRC2:SCRATCH_EN: 0
; COMPUTE_PGM_RSRC2:USER_SGPR: 6
; COMPUTE_PGM_RSRC2:TRAP_HANDLER: 0
; COMPUTE_PGM_RSRC2:TGID_X_EN: 1
; COMPUTE_PGM_RSRC2:TGID_Y_EN: 0
; COMPUTE_PGM_RSRC2:TGID_Z_EN: 0
; COMPUTE_PGM_RSRC2:TIDIG_COMP_CNT: 0
	.text
	.p2alignl 6, 3214868480
	.fill 48, 4, 3214868480
	.type	__hip_cuid_c9381f426f0340f3,@object ; @__hip_cuid_c9381f426f0340f3
	.section	.bss,"aw",@nobits
	.globl	__hip_cuid_c9381f426f0340f3
__hip_cuid_c9381f426f0340f3:
	.byte	0                               ; 0x0
	.size	__hip_cuid_c9381f426f0340f3, 1

	.ident	"AMD clang version 19.0.0git (https://github.com/RadeonOpenCompute/llvm-project roc-6.4.0 25133 c7fe45cf4b819c5991fe208aaa96edf142730f1d)"
	.section	".note.GNU-stack","",@progbits
	.addrsig
	.addrsig_sym __hip_cuid_c9381f426f0340f3
	.amdgpu_metadata
---
amdhsa.kernels:
  - .args:
      - .actual_access:  read_only
        .address_space:  global
        .offset:         0
        .size:           8
        .value_kind:     global_buffer
      - .offset:         8
        .size:           8
        .value_kind:     by_value
      - .actual_access:  read_only
        .address_space:  global
        .offset:         16
        .size:           8
        .value_kind:     global_buffer
      - .actual_access:  read_only
        .address_space:  global
        .offset:         24
        .size:           8
        .value_kind:     global_buffer
      - .offset:         32
        .size:           8
        .value_kind:     by_value
      - .actual_access:  read_only
        .address_space:  global
        .offset:         40
        .size:           8
        .value_kind:     global_buffer
      - .actual_access:  read_only
        .address_space:  global
        .offset:         48
        .size:           8
        .value_kind:     global_buffer
      - .offset:         56
        .size:           4
        .value_kind:     by_value
      - .actual_access:  read_only
        .address_space:  global
        .offset:         64
        .size:           8
        .value_kind:     global_buffer
      - .actual_access:  read_only
        .address_space:  global
        .offset:         72
        .size:           8
        .value_kind:     global_buffer
      - .address_space:  global
        .offset:         80
        .size:           8
        .value_kind:     global_buffer
    .group_segment_fixed_size: 0
    .kernarg_segment_align: 8
    .kernarg_segment_size: 88
    .language:       OpenCL C
    .language_version:
      - 2
      - 0
    .max_flat_workgroup_size: 55
    .name:           fft_rtc_back_len605_factors_11_5_11_wgs_55_tpt_55_half_ip_CI_unitstride_sbrr_dirReg
    .private_segment_fixed_size: 0
    .sgpr_count:     23
    .sgpr_spill_count: 0
    .symbol:         fft_rtc_back_len605_factors_11_5_11_wgs_55_tpt_55_half_ip_CI_unitstride_sbrr_dirReg.kd
    .uniform_work_group_size: 1
    .uses_dynamic_stack: false
    .vgpr_count:     120
    .vgpr_spill_count: 0
    .wavefront_size: 32
    .workgroup_processor_mode: 1
amdhsa.target:   amdgcn-amd-amdhsa--gfx1030
amdhsa.version:
  - 1
  - 2
...

	.end_amdgpu_metadata
